;; amdgpu-corpus repo=ROCm/rocFFT kind=compiled arch=gfx1030 opt=O3
	.text
	.amdgcn_target "amdgcn-amd-amdhsa--gfx1030"
	.amdhsa_code_object_version 6
	.protected	fft_rtc_fwd_len1080_factors_6_10_6_3_wgs_216_tpt_108_halfLds_sp_op_CI_CI_sbrr_dirReg ; -- Begin function fft_rtc_fwd_len1080_factors_6_10_6_3_wgs_216_tpt_108_halfLds_sp_op_CI_CI_sbrr_dirReg
	.globl	fft_rtc_fwd_len1080_factors_6_10_6_3_wgs_216_tpt_108_halfLds_sp_op_CI_CI_sbrr_dirReg
	.p2align	8
	.type	fft_rtc_fwd_len1080_factors_6_10_6_3_wgs_216_tpt_108_halfLds_sp_op_CI_CI_sbrr_dirReg,@function
fft_rtc_fwd_len1080_factors_6_10_6_3_wgs_216_tpt_108_halfLds_sp_op_CI_CI_sbrr_dirReg: ; @fft_rtc_fwd_len1080_factors_6_10_6_3_wgs_216_tpt_108_halfLds_sp_op_CI_CI_sbrr_dirReg
; %bb.0:
	s_clause 0x2
	s_load_dwordx4 s[16:19], s[4:5], 0x18
	s_load_dwordx4 s[8:11], s[4:5], 0x0
	;; [unrolled: 1-line block ×3, first 2 shown]
	v_mul_u32_u24_e32 v1, 0x25f, v0
	v_mov_b32_e32 v7, 0
	v_mov_b32_e32 v5, 0
	;; [unrolled: 1-line block ×3, first 2 shown]
	s_waitcnt lgkmcnt(0)
	s_load_dwordx2 s[20:21], s[16:17], 0x0
	s_load_dwordx2 s[2:3], s[18:19], 0x0
	v_lshrrev_b32_e32 v31, 16, v1
	v_cmp_lt_u64_e64 s0, s[10:11], 2
	v_mov_b32_e32 v10, v7
	v_lshl_add_u32 v9, s6, 1, v31
	s_and_b32 vcc_lo, exec_lo, s0
	s_cbranch_vccnz .LBB0_8
; %bb.1:
	s_load_dwordx2 s[0:1], s[4:5], 0x10
	v_mov_b32_e32 v5, 0
	v_mov_b32_e32 v6, 0
	s_add_u32 s6, s18, 8
	s_addc_u32 s7, s19, 0
	v_mov_b32_e32 v1, v5
	s_add_u32 s22, s16, 8
	v_mov_b32_e32 v2, v6
	s_addc_u32 s23, s17, 0
	s_mov_b64 s[26:27], 1
	s_waitcnt lgkmcnt(0)
	s_add_u32 s24, s0, 8
	s_addc_u32 s25, s1, 0
.LBB0_2:                                ; =>This Inner Loop Header: Depth=1
	s_load_dwordx2 s[28:29], s[24:25], 0x0
                                        ; implicit-def: $vgpr3_vgpr4
	s_mov_b32 s0, exec_lo
	s_waitcnt lgkmcnt(0)
	v_or_b32_e32 v8, s29, v10
	v_cmpx_ne_u64_e32 0, v[7:8]
	s_xor_b32 s1, exec_lo, s0
	s_cbranch_execz .LBB0_4
; %bb.3:                                ;   in Loop: Header=BB0_2 Depth=1
	v_cvt_f32_u32_e32 v3, s28
	v_cvt_f32_u32_e32 v4, s29
	s_sub_u32 s0, 0, s28
	s_subb_u32 s30, 0, s29
	v_fmac_f32_e32 v3, 0x4f800000, v4
	v_rcp_f32_e32 v3, v3
	v_mul_f32_e32 v3, 0x5f7ffffc, v3
	v_mul_f32_e32 v4, 0x2f800000, v3
	v_trunc_f32_e32 v4, v4
	v_fmac_f32_e32 v3, 0xcf800000, v4
	v_cvt_u32_f32_e32 v4, v4
	v_cvt_u32_f32_e32 v3, v3
	v_mul_lo_u32 v8, s0, v4
	v_mul_hi_u32 v11, s0, v3
	v_mul_lo_u32 v12, s30, v3
	v_add_nc_u32_e32 v8, v11, v8
	v_mul_lo_u32 v11, s0, v3
	v_add_nc_u32_e32 v8, v8, v12
	v_mul_hi_u32 v12, v3, v11
	v_mul_lo_u32 v13, v3, v8
	v_mul_hi_u32 v14, v3, v8
	v_mul_hi_u32 v15, v4, v11
	v_mul_lo_u32 v11, v4, v11
	v_mul_hi_u32 v16, v4, v8
	v_mul_lo_u32 v8, v4, v8
	v_add_co_u32 v12, vcc_lo, v12, v13
	v_add_co_ci_u32_e32 v13, vcc_lo, 0, v14, vcc_lo
	v_add_co_u32 v11, vcc_lo, v12, v11
	v_add_co_ci_u32_e32 v11, vcc_lo, v13, v15, vcc_lo
	v_add_co_ci_u32_e32 v12, vcc_lo, 0, v16, vcc_lo
	v_add_co_u32 v8, vcc_lo, v11, v8
	v_add_co_ci_u32_e32 v11, vcc_lo, 0, v12, vcc_lo
	v_add_co_u32 v3, vcc_lo, v3, v8
	v_add_co_ci_u32_e32 v4, vcc_lo, v4, v11, vcc_lo
	v_mul_hi_u32 v8, s0, v3
	v_mul_lo_u32 v12, s30, v3
	v_mul_lo_u32 v11, s0, v4
	v_add_nc_u32_e32 v8, v8, v11
	v_mul_lo_u32 v11, s0, v3
	v_add_nc_u32_e32 v8, v8, v12
	v_mul_hi_u32 v12, v3, v11
	v_mul_lo_u32 v13, v3, v8
	v_mul_hi_u32 v14, v3, v8
	v_mul_hi_u32 v15, v4, v11
	v_mul_lo_u32 v11, v4, v11
	v_mul_hi_u32 v16, v4, v8
	v_mul_lo_u32 v8, v4, v8
	v_add_co_u32 v12, vcc_lo, v12, v13
	v_add_co_ci_u32_e32 v13, vcc_lo, 0, v14, vcc_lo
	v_add_co_u32 v11, vcc_lo, v12, v11
	v_add_co_ci_u32_e32 v11, vcc_lo, v13, v15, vcc_lo
	v_add_co_ci_u32_e32 v12, vcc_lo, 0, v16, vcc_lo
	v_add_co_u32 v8, vcc_lo, v11, v8
	v_add_co_ci_u32_e32 v11, vcc_lo, 0, v12, vcc_lo
	v_add_co_u32 v8, vcc_lo, v3, v8
	v_add_co_ci_u32_e32 v13, vcc_lo, v4, v11, vcc_lo
	v_mul_hi_u32 v15, v9, v8
	v_mad_u64_u32 v[11:12], null, v10, v8, 0
	v_mad_u64_u32 v[3:4], null, v9, v13, 0
	;; [unrolled: 1-line block ×3, first 2 shown]
	v_add_co_u32 v3, vcc_lo, v15, v3
	v_add_co_ci_u32_e32 v4, vcc_lo, 0, v4, vcc_lo
	v_add_co_u32 v3, vcc_lo, v3, v11
	v_add_co_ci_u32_e32 v3, vcc_lo, v4, v12, vcc_lo
	v_add_co_ci_u32_e32 v4, vcc_lo, 0, v14, vcc_lo
	v_add_co_u32 v8, vcc_lo, v3, v13
	v_add_co_ci_u32_e32 v11, vcc_lo, 0, v4, vcc_lo
	v_mul_lo_u32 v12, s29, v8
	v_mad_u64_u32 v[3:4], null, s28, v8, 0
	v_mul_lo_u32 v13, s28, v11
	v_sub_co_u32 v3, vcc_lo, v9, v3
	v_add3_u32 v4, v4, v13, v12
	v_sub_nc_u32_e32 v12, v10, v4
	v_subrev_co_ci_u32_e64 v12, s0, s29, v12, vcc_lo
	v_add_co_u32 v13, s0, v8, 2
	v_add_co_ci_u32_e64 v14, s0, 0, v11, s0
	v_sub_co_u32 v15, s0, v3, s28
	v_sub_co_ci_u32_e32 v4, vcc_lo, v10, v4, vcc_lo
	v_subrev_co_ci_u32_e64 v12, s0, 0, v12, s0
	v_cmp_le_u32_e32 vcc_lo, s28, v15
	v_cmp_eq_u32_e64 s0, s29, v4
	v_cndmask_b32_e64 v15, 0, -1, vcc_lo
	v_cmp_le_u32_e32 vcc_lo, s29, v12
	v_cndmask_b32_e64 v16, 0, -1, vcc_lo
	v_cmp_le_u32_e32 vcc_lo, s28, v3
	v_cndmask_b32_e64 v3, 0, -1, vcc_lo
	v_cmp_le_u32_e32 vcc_lo, s29, v4
	v_cndmask_b32_e64 v17, 0, -1, vcc_lo
	v_cmp_eq_u32_e32 vcc_lo, s29, v12
	v_cndmask_b32_e64 v3, v17, v3, s0
	v_cndmask_b32_e32 v12, v16, v15, vcc_lo
	v_add_co_u32 v15, vcc_lo, v8, 1
	v_add_co_ci_u32_e32 v16, vcc_lo, 0, v11, vcc_lo
	v_cmp_ne_u32_e32 vcc_lo, 0, v12
	v_cndmask_b32_e32 v4, v16, v14, vcc_lo
	v_cndmask_b32_e32 v12, v15, v13, vcc_lo
	v_cmp_ne_u32_e32 vcc_lo, 0, v3
	v_cndmask_b32_e32 v4, v11, v4, vcc_lo
	v_cndmask_b32_e32 v3, v8, v12, vcc_lo
.LBB0_4:                                ;   in Loop: Header=BB0_2 Depth=1
	s_andn2_saveexec_b32 s0, s1
	s_cbranch_execz .LBB0_6
; %bb.5:                                ;   in Loop: Header=BB0_2 Depth=1
	v_cvt_f32_u32_e32 v3, s28
	s_sub_i32 s1, 0, s28
	v_rcp_iflag_f32_e32 v3, v3
	v_mul_f32_e32 v3, 0x4f7ffffe, v3
	v_cvt_u32_f32_e32 v3, v3
	v_mul_lo_u32 v4, s1, v3
	v_mul_hi_u32 v4, v3, v4
	v_add_nc_u32_e32 v3, v3, v4
	v_mul_hi_u32 v3, v9, v3
	v_mul_lo_u32 v4, v3, s28
	v_add_nc_u32_e32 v8, 1, v3
	v_sub_nc_u32_e32 v4, v9, v4
	v_subrev_nc_u32_e32 v11, s28, v4
	v_cmp_le_u32_e32 vcc_lo, s28, v4
	v_cndmask_b32_e32 v4, v4, v11, vcc_lo
	v_cndmask_b32_e32 v3, v3, v8, vcc_lo
	v_cmp_le_u32_e32 vcc_lo, s28, v4
	v_add_nc_u32_e32 v8, 1, v3
	v_mov_b32_e32 v4, v7
	v_cndmask_b32_e32 v3, v3, v8, vcc_lo
.LBB0_6:                                ;   in Loop: Header=BB0_2 Depth=1
	s_or_b32 exec_lo, exec_lo, s0
	v_mul_lo_u32 v8, v4, s28
	v_mul_lo_u32 v13, v3, s29
	s_load_dwordx2 s[0:1], s[22:23], 0x0
	v_mad_u64_u32 v[11:12], null, v3, s28, 0
	s_load_dwordx2 s[28:29], s[6:7], 0x0
	s_add_u32 s26, s26, 1
	s_addc_u32 s27, s27, 0
	s_add_u32 s6, s6, 8
	s_addc_u32 s7, s7, 0
	s_add_u32 s22, s22, 8
	v_add3_u32 v8, v12, v13, v8
	v_sub_co_u32 v9, vcc_lo, v9, v11
	s_addc_u32 s23, s23, 0
	s_add_u32 s24, s24, 8
	v_sub_co_ci_u32_e32 v8, vcc_lo, v10, v8, vcc_lo
	s_addc_u32 s25, s25, 0
	s_waitcnt lgkmcnt(0)
	v_mul_lo_u32 v10, s0, v8
	v_mul_lo_u32 v11, s1, v9
	v_mad_u64_u32 v[5:6], null, s0, v9, v[5:6]
	v_mul_lo_u32 v8, s28, v8
	v_mul_lo_u32 v12, s29, v9
	v_mad_u64_u32 v[1:2], null, s28, v9, v[1:2]
	v_cmp_ge_u64_e64 s0, s[26:27], s[10:11]
	v_add3_u32 v6, v11, v6, v10
	v_add3_u32 v2, v12, v2, v8
	s_and_b32 vcc_lo, exec_lo, s0
	s_cbranch_vccnz .LBB0_9
; %bb.7:                                ;   in Loop: Header=BB0_2 Depth=1
	v_mov_b32_e32 v10, v4
	v_mov_b32_e32 v9, v3
	s_branch .LBB0_2
.LBB0_8:
	v_mov_b32_e32 v1, v5
	v_mov_b32_e32 v3, v9
	;; [unrolled: 1-line block ×4, first 2 shown]
.LBB0_9:
	s_load_dwordx2 s[0:1], s[4:5], 0x28
	v_mul_hi_u32 v8, 0x25ed098, v0
	s_lshl_b64 s[6:7], s[10:11], 3
                                        ; implicit-def: $vgpr30
	s_add_u32 s4, s18, s6
	s_addc_u32 s5, s19, s7
	s_waitcnt lgkmcnt(0)
	v_cmp_gt_u64_e32 vcc_lo, s[0:1], v[3:4]
	v_cmp_le_u64_e64 s0, s[0:1], v[3:4]
	s_and_saveexec_b32 s1, s0
	s_xor_b32 s0, exec_lo, s1
; %bb.10:
	v_mul_u32_u24_e32 v5, 0x6c, v8
                                        ; implicit-def: $vgpr8
	v_sub_nc_u32_e32 v30, v0, v5
                                        ; implicit-def: $vgpr0
                                        ; implicit-def: $vgpr5_vgpr6
; %bb.11:
	s_or_saveexec_b32 s1, s0
	s_load_dwordx2 s[4:5], s[4:5], 0x0
                                        ; implicit-def: $vgpr25
                                        ; implicit-def: $vgpr19
                                        ; implicit-def: $vgpr29
                                        ; implicit-def: $vgpr27
                                        ; implicit-def: $vgpr23
                                        ; implicit-def: $vgpr21
                                        ; implicit-def: $vgpr13
                                        ; implicit-def: $vgpr11
                                        ; implicit-def: $vgpr17
                                        ; implicit-def: $vgpr15
                                        ; implicit-def: $vgpr9
                                        ; implicit-def: $vgpr7
	s_xor_b32 exec_lo, exec_lo, s1
	s_cbranch_execz .LBB0_15
; %bb.12:
	s_add_u32 s6, s16, s6
	s_addc_u32 s7, s17, s7
	v_mul_u32_u24_e32 v7, 0x6c, v8
	s_load_dwordx2 s[6:7], s[6:7], 0x0
	v_lshlrev_b64 v[5:6], 3, v[5:6]
                                        ; implicit-def: $vgpr26
                                        ; implicit-def: $vgpr28
	v_sub_nc_u32_e32 v30, v0, v7
	v_mad_u64_u32 v[7:8], null, s20, v30, 0
	v_add_nc_u32_e32 v20, 0xb4, v30
	v_add_nc_u32_e32 v21, 0x168, v30
	;; [unrolled: 1-line block ×5, first 2 shown]
	v_mad_u64_u32 v[9:10], null, s20, v20, 0
	v_mov_b32_e32 v0, v8
	v_mad_u64_u32 v[11:12], null, s20, v21, 0
	s_waitcnt lgkmcnt(0)
	v_mul_lo_u32 v8, s7, v3
	v_mul_lo_u32 v24, s6, v4
	v_mad_u64_u32 v[13:14], null, s6, v3, 0
	v_mad_u64_u32 v[15:16], null, s20, v22, 0
	;; [unrolled: 1-line block ×3, first 2 shown]
	v_mov_b32_e32 v0, v10
	v_mov_b32_e32 v10, v12
	v_add3_u32 v14, v14, v24, v8
	v_mad_u64_u32 v[18:19], null, s20, v23, 0
	v_mov_b32_e32 v12, v16
	v_mov_b32_e32 v8, v17
	v_lshlrev_b64 v[13:14], 3, v[13:14]
	v_mad_u64_u32 v[16:17], null, s21, v20, v[0:1]
	v_mad_u64_u32 v[20:21], null, s21, v21, v[10:11]
	v_lshlrev_b64 v[7:8], 3, v[7:8]
	v_add_co_u32 v0, s0, s12, v13
	v_add_co_ci_u32_e64 v13, s0, s13, v14, s0
	v_mov_b32_e32 v10, v16
	v_add_co_u32 v0, s0, v0, v5
	v_add_co_ci_u32_e64 v5, s0, v13, v6, s0
	v_mad_u64_u32 v[13:14], null, s21, v22, v[12:13]
	v_add_co_u32 v6, s0, v0, v7
	v_lshlrev_b64 v[9:10], 3, v[9:10]
	v_mad_u64_u32 v[21:22], null, s20, v25, 0
	v_add_co_ci_u32_e64 v7, s0, v5, v8, s0
	v_mov_b32_e32 v8, v19
	v_mov_b32_e32 v16, v13
	;; [unrolled: 1-line block ×3, first 2 shown]
	s_mov_b32 s6, exec_lo
                                        ; implicit-def: $vgpr24
	v_mad_u64_u32 v[13:14], null, s21, v23, v[8:9]
	v_mov_b32_e32 v8, v22
	v_add_co_u32 v9, s0, v0, v9
	v_lshlrev_b64 v[11:12], 3, v[11:12]
	v_lshlrev_b64 v[14:15], 3, v[15:16]
	v_add_co_ci_u32_e64 v10, s0, v5, v10, s0
	v_mad_u64_u32 v[22:23], null, s21, v25, v[8:9]
	v_mov_b32_e32 v19, v13
	v_add_co_u32 v11, s0, v0, v11
	v_add_co_ci_u32_e64 v12, s0, v5, v12, s0
	v_lshlrev_b64 v[16:17], 3, v[18:19]
	v_add_co_u32 v18, s0, v0, v14
	v_lshlrev_b64 v[13:14], 3, v[21:22]
	v_add_co_ci_u32_e64 v19, s0, v5, v15, s0
	v_add_co_u32 v20, s0, v0, v16
	v_add_co_ci_u32_e64 v21, s0, v5, v17, s0
	v_add_co_u32 v22, s0, v0, v13
	v_add_co_ci_u32_e64 v23, s0, v5, v14, s0
	s_clause 0x5
	global_load_dwordx2 v[6:7], v[6:7], off
	global_load_dwordx2 v[8:9], v[9:10], off
	;; [unrolled: 1-line block ×6, first 2 shown]
                                        ; implicit-def: $vgpr20
                                        ; implicit-def: $vgpr22
                                        ; implicit-def: $vgpr18
	v_cmpx_gt_u32_e32 0x48, v30
	s_cbranch_execz .LBB0_14
; %bb.13:
	v_add_nc_u32_e32 v24, 0x6c, v30
	v_add_nc_u32_e32 v29, 0x120, v30
	;; [unrolled: 1-line block ×5, first 2 shown]
	v_mad_u64_u32 v[18:19], null, s20, v24, 0
	v_mad_u64_u32 v[20:21], null, s20, v29, 0
	;; [unrolled: 1-line block ×4, first 2 shown]
	v_add_nc_u32_e32 v39, 0x3f0, v30
	v_mad_u64_u32 v[24:25], null, s21, v24, v[19:20]
	v_mad_u64_u32 v[25:26], null, s20, v37, 0
	;; [unrolled: 1-line block ×4, first 2 shown]
	v_mov_b32_e32 v19, v24
	v_mov_b32_e32 v24, v28
	;; [unrolled: 1-line block ×3, first 2 shown]
	v_lshlrev_b64 v[18:19], 3, v[18:19]
	v_mad_u64_u32 v[28:29], null, s21, v36, v[23:24]
	v_mad_u64_u32 v[35:36], null, s21, v37, v[21:22]
	v_mov_b32_e32 v21, v34
	v_add_co_u32 v18, s0, v0, v18
	v_add_co_ci_u32_e64 v19, s0, v5, v19, s0
	v_lshlrev_b64 v[20:21], 3, v[20:21]
	v_mov_b32_e32 v23, v28
	v_mad_u64_u32 v[28:29], null, s21, v38, v[24:25]
	v_mov_b32_e32 v24, v33
	v_mov_b32_e32 v26, v35
	v_add_co_u32 v34, s0, v0, v20
	v_add_co_ci_u32_e64 v35, s0, v5, v21, s0
	v_lshlrev_b64 v[20:21], 3, v[22:23]
	v_mad_u64_u32 v[22:23], null, s21, v39, v[24:25]
	v_lshlrev_b64 v[23:24], 3, v[25:26]
	v_add_co_u32 v25, s0, v0, v20
	v_add_co_ci_u32_e64 v26, s0, v5, v21, s0
	v_mov_b32_e32 v33, v22
	v_lshlrev_b64 v[20:21], 3, v[27:28]
	v_add_co_u32 v28, s0, v0, v23
	v_add_co_ci_u32_e64 v29, s0, v5, v24, s0
	v_lshlrev_b64 v[22:23], 3, v[32:33]
	v_add_co_u32 v32, s0, v0, v20
	v_add_co_ci_u32_e64 v33, s0, v5, v21, s0
	v_add_co_u32 v36, s0, v0, v22
	v_add_co_ci_u32_e64 v37, s0, v5, v23, s0
	s_clause 0x5
	global_load_dwordx2 v[20:21], v[18:19], off
	global_load_dwordx2 v[22:23], v[34:35], off
	;; [unrolled: 1-line block ×6, first 2 shown]
.LBB0_14:
	s_or_b32 exec_lo, exec_lo, s6
.LBB0_15:
	s_or_b32 exec_lo, exec_lo, s1
	v_and_b32_e32 v5, 1, v31
	s_waitcnt vmcnt(0)
	v_add_f32_e32 v0, v12, v16
	v_add_f32_e32 v31, v14, v6
	v_add_f32_e32 v32, v10, v14
	v_add_f32_e32 v33, v13, v17
	v_add_f32_e32 v34, v16, v8
	v_fmac_f32_e32 v8, -0.5, v0
	v_sub_f32_e32 v0, v17, v13
	v_add_f32_e32 v35, v10, v31
	v_fma_f32 v31, -0.5, v33, v9
	v_sub_f32_e32 v33, v16, v12
	v_fmac_f32_e32 v6, -0.5, v32
	v_sub_f32_e32 v32, v15, v11
	v_cmp_eq_u32_e64 s0, 1, v5
	v_add_f32_e32 v5, v24, v28
	v_fmamk_f32 v16, v0, 0x3f5db3d7, v8
	v_fmac_f32_e32 v8, 0xbf5db3d7, v0
	v_fmamk_f32 v0, v33, 0xbf5db3d7, v31
	v_fmac_f32_e32 v31, 0x3f5db3d7, v33
	;; [unrolled: 2-line block ×3, first 2 shown]
	v_add_f32_e32 v33, v12, v34
	v_add_f32_e32 v34, v25, v29
	v_fma_f32 v32, -0.5, v5, v22
	v_sub_f32_e32 v5, v29, v25
	v_add_f32_e32 v37, v18, v26
	v_add_f32_e32 v42, v33, v35
	v_sub_f32_e32 v45, v35, v33
	v_fma_f32 v33, -0.5, v34, v23
	v_sub_f32_e32 v39, v28, v24
	v_fmamk_f32 v35, v5, 0x3f5db3d7, v32
	v_fmac_f32_e32 v32, 0xbf5db3d7, v5
	v_mul_f32_e32 v36, 0.5, v16
	v_mul_f32_e32 v47, -0.5, v8
	v_fma_f32 v38, -0.5, v37, v20
	v_sub_f32_e32 v37, v27, v19
	v_fmamk_f32 v34, v39, 0xbf5db3d7, v33
	v_fmac_f32_e32 v33, 0x3f5db3d7, v39
	v_mul_f32_e32 v39, 0.5, v35
	v_mul_u32_u24_e32 v5, 6, v30
	v_mul_f32_e32 v41, -0.5, v32
	v_fmac_f32_e32 v36, 0x3f5db3d7, v0
	v_fmac_f32_e32 v47, 0x3f5db3d7, v31
	v_cndmask_b32_e64 v12, 0, 0x438, s0
	v_fmamk_f32 v40, v37, 0x3f5db3d7, v38
	v_fmac_f32_e32 v38, 0xbf5db3d7, v37
	v_fmac_f32_e32 v39, 0x3f5db3d7, v34
	v_lshl_add_u32 v37, v5, 2, 0
	v_fmac_f32_e32 v41, 0x3f5db3d7, v33
	v_add_f32_e32 v43, v46, v36
	v_add_f32_e32 v44, v6, v47
	v_sub_f32_e32 v46, v46, v36
	v_sub_f32_e32 v47, v6, v47
	;; [unrolled: 1-line block ×3, first 2 shown]
	v_lshl_add_u32 v36, v12, 2, v37
	v_sub_f32_e32 v6, v38, v41
	v_cmp_gt_u32_e64 s0, 0x48, v30
	ds_write2_b64 v36, v[42:43], v[44:45] offset1:1
	ds_write_b64 v36, v[46:47] offset:16
	s_and_saveexec_b32 s1, s0
	s_cbranch_execz .LBB0_17
; %bb.16:
	v_add_f32_e32 v20, v26, v20
	v_add_f32_e32 v22, v28, v22
	;; [unrolled: 1-line block ×6, first 2 shown]
	v_add_nc_u32_e32 v24, 0xa20, v36
	v_sub_f32_e32 v39, v20, v22
	v_add_f32_e32 v40, v22, v20
	ds_write2_b64 v24, v[40:41], v[38:39] offset1:1
	ds_write_b64 v36, v[5:6] offset:2608
.LBB0_17:
	s_or_b32 exec_lo, exec_lo, s1
	v_add_f32_e32 v20, v11, v15
	v_add_f32_e32 v15, v15, v7
	v_sub_f32_e32 v10, v14, v10
	v_mul_f32_e32 v44, 0xbf5db3d7, v16
	v_mul_f32_e32 v46, -0.5, v31
	v_fmac_f32_e32 v7, -0.5, v20
	v_lshlrev_b32_e32 v31, 2, v12
	v_add_f32_e32 v9, v17, v9
	v_fmac_f32_e32 v44, 0.5, v0
	v_sub_f32_e32 v0, v26, v18
	v_fmamk_f32 v45, v10, 0xbf5db3d7, v7
	v_fmac_f32_e32 v7, 0x3f5db3d7, v10
	v_mul_i32_i24_e32 v10, 0xffffffec, v30
	v_fmac_f32_e32 v46, 0xbf5db3d7, v8
	v_lshlrev_b32_e32 v8, 2, v30
	v_add_f32_e32 v43, v13, v9
	v_add_f32_e32 v9, v19, v27
	v_add3_u32 v26, v37, v10, v31
	v_add_f32_e32 v42, v11, v15
	v_add3_u32 v28, 0, v31, v8
	s_waitcnt lgkmcnt(0)
	v_fma_f32 v38, -0.5, v9, v21
	v_add_nc_u32_e32 v24, 0x400, v26
	v_add_nc_u32_e32 v20, 0x800, v26
	;; [unrolled: 1-line block ×3, first 2 shown]
	s_barrier
	buffer_gl0_inv
	ds_read2_b32 v[15:16], v26 offset0:108 offset1:216
	ds_read2_b32 v[13:14], v24 offset0:68 offset1:176
	;; [unrolled: 1-line block ×4, first 2 shown]
	ds_read_b32 v17, v28
	ds_read_b32 v18, v26 offset:3888
	v_mul_f32_e32 v35, 0xbf5db3d7, v35
	v_mul_f32_e32 v33, -0.5, v33
	v_fmamk_f32 v37, v0, 0xbf5db3d7, v38
	v_fmac_f32_e32 v38, 0x3f5db3d7, v0
	v_add_f32_e32 v39, v43, v42
	v_fmac_f32_e32 v35, 0.5, v34
	v_fmac_f32_e32 v33, 0xbf5db3d7, v32
	v_add_f32_e32 v40, v45, v44
	v_add_f32_e32 v41, v7, v46
	v_sub_f32_e32 v42, v42, v43
	v_sub_f32_e32 v43, v45, v44
	;; [unrolled: 1-line block ×5, first 2 shown]
	v_add_nc_u32_e32 v0, 0x6c, v30
	s_waitcnt lgkmcnt(0)
	s_barrier
	buffer_gl0_inv
	ds_write2_b64 v36, v[39:40], v[41:42] offset1:1
	ds_write_b64 v36, v[43:44] offset:16
	s_and_saveexec_b32 s1, s0
	s_cbranch_execz .LBB0_19
; %bb.18:
	v_add_f32_e32 v21, v27, v21
	v_add_f32_e32 v23, v29, v23
	v_mul_u32_u24_e32 v27, 6, v0
	v_add_f32_e32 v34, v37, v35
	v_add_f32_e32 v35, v38, v33
	;; [unrolled: 1-line block ×4, first 2 shown]
	v_lshlrev_b32_e32 v23, 2, v27
	v_add_f32_e32 v33, v21, v19
	v_sub_f32_e32 v36, v19, v21
	v_add3_u32 v19, 0, v23, v31
	ds_write2_b64 v19, v[33:34], v[35:36] offset1:1
	ds_write_b64 v19, v[7:8] offset:16
.LBB0_19:
	s_or_b32 exec_lo, exec_lo, s1
	v_and_b32_e32 v19, 0xff, v30
	v_mov_b32_e32 v23, 9
	s_waitcnt lgkmcnt(0)
	s_barrier
	buffer_gl0_inv
	v_mul_lo_u16 v19, 0xab, v19
	v_lshrrev_b16 v19, 10, v19
	v_mul_lo_u16 v21, v19, 6
	v_and_b32_e32 v19, 0xffff, v19
	v_sub_nc_u16 v21, v30, v21
	v_mul_u32_u24_sdwa v23, v21, v23 dst_sel:DWORD dst_unused:UNUSED_PAD src0_sel:BYTE_0 src1_sel:DWORD
	v_lshlrev_b32_e32 v23, 3, v23
	s_clause 0x4
	global_load_dwordx4 v[37:40], v23, s[8:9]
	global_load_dwordx4 v[41:44], v23, s[8:9] offset:16
	global_load_dwordx4 v[45:48], v23, s[8:9] offset:32
	;; [unrolled: 1-line block ×3, first 2 shown]
	global_load_dwordx2 v[53:54], v23, s[8:9] offset:64
	ds_read2_b32 v[55:56], v26 offset0:108 offset1:216
	ds_read2_b32 v[57:58], v24 offset0:68 offset1:176
	;; [unrolled: 1-line block ×3, first 2 shown]
	v_mad_u32_u24 v24, 0xf0, v19, 0
	ds_read2_b32 v[61:62], v22 offset0:116 offset1:224
	ds_read_b32 v19, v28
	ds_read_b32 v25, v26 offset:3888
	v_mov_b32_e32 v23, 2
	s_waitcnt vmcnt(0) lgkmcnt(0)
	s_barrier
	buffer_gl0_inv
	v_lshlrev_b32_sdwa v23, v23, v21 dst_sel:DWORD dst_unused:UNUSED_PAD src0_sel:DWORD src1_sel:BYTE_0
	v_add_nc_u32_e32 v21, 0x200, v26
	v_add3_u32 v22, v24, v23, v31
	v_mul_f32_e32 v27, v55, v38
	v_mul_f32_e32 v36, v56, v40
	;; [unrolled: 1-line block ×15, first 2 shown]
	v_fma_f32 v15, v15, v37, -v27
	v_fma_f32 v42, v16, v39, -v36
	v_mul_f32_e32 v27, v25, v54
	v_mul_f32_e32 v16, v18, v54
	v_fma_f32 v13, v13, v41, -v38
	v_fma_f32 v38, v14, v43, -v40
	v_fmac_f32_e32 v29, v59, v45
	v_fma_f32 v40, v12, v47, -v46
	v_fmac_f32_e32 v35, v60, v47
	v_fmac_f32_e32 v24, v61, v49
	v_fma_f32 v47, v10, v51, -v50
	v_mul_f32_e32 v36, v10, v52
	v_fmac_f32_e32 v32, v57, v41
	v_fma_f32 v11, v11, v45, -v44
	v_fma_f32 v9, v9, v49, -v48
	;; [unrolled: 1-line block ×3, first 2 shown]
	v_fmac_f32_e32 v16, v25, v53
	v_fmac_f32_e32 v23, v55, v37
	v_fmac_f32_e32 v33, v56, v39
	v_add_f32_e32 v14, v38, v40
	v_add_f32_e32 v39, v42, v47
	;; [unrolled: 1-line block ×3, first 2 shown]
	v_fmac_f32_e32 v34, v58, v43
	v_fmac_f32_e32 v36, v62, v51
	v_sub_f32_e32 v27, v42, v38
	v_sub_f32_e32 v37, v47, v40
	v_sub_f32_e32 v41, v38, v42
	v_sub_f32_e32 v43, v40, v47
	v_add_f32_e32 v45, v11, v9
	v_add_f32_e32 v51, v13, v10
	v_add_f32_e32 v58, v32, v16
	v_add_f32_e32 v12, v17, v42
	v_add_f32_e32 v44, v15, v13
	v_sub_f32_e32 v46, v13, v11
	v_sub_f32_e32 v52, v11, v13
	;; [unrolled: 1-line block ×3, first 2 shown]
	v_fma_f32 v14, -0.5, v14, v17
	v_fmac_f32_e32 v17, -0.5, v39
	v_fma_f32 v39, -0.5, v54, v23
	v_sub_f32_e32 v49, v29, v24
	v_sub_f32_e32 v55, v11, v9
	v_add_f32_e32 v27, v27, v37
	v_add_f32_e32 v61, v41, v43
	v_fma_f32 v37, -0.5, v45, v15
	v_fmac_f32_e32 v15, -0.5, v51
	v_fma_f32 v41, -0.5, v58, v23
	v_sub_f32_e32 v48, v32, v16
	v_sub_f32_e32 v50, v10, v9
	v_sub_f32_e32 v53, v9, v10
	v_sub_f32_e32 v56, v32, v29
	v_sub_f32_e32 v57, v16, v24
	v_fmamk_f32 v43, v13, 0xbf737871, v39
	v_sub_f32_e32 v59, v29, v32
	v_sub_f32_e32 v60, v24, v16
	v_add_f32_e32 v11, v44, v11
	v_fmamk_f32 v45, v49, 0xbf737871, v15
	v_fmac_f32_e32 v15, 0x3f737871, v49
	v_fmamk_f32 v44, v55, 0x3f737871, v41
	v_add_f32_e32 v50, v46, v50
	v_fmamk_f32 v46, v48, 0x3f737871, v37
	v_fmac_f32_e32 v37, 0xbf737871, v48
	v_sub_f32_e32 v18, v33, v36
	v_add_f32_e32 v51, v52, v53
	v_add_f32_e32 v52, v56, v57
	v_fmac_f32_e32 v43, 0xbf167918, v55
	v_sub_f32_e32 v25, v34, v35
	v_add_f32_e32 v12, v12, v38
	v_add_f32_e32 v53, v59, v60
	v_fmac_f32_e32 v41, 0xbf737871, v55
	v_fmac_f32_e32 v15, 0xbf167918, v48
	;; [unrolled: 1-line block ×5, first 2 shown]
	v_fmamk_f32 v54, v18, 0x3f737871, v14
	v_add_f32_e32 v9, v11, v9
	v_fmac_f32_e32 v46, 0x3f167918, v49
	v_fmac_f32_e32 v43, 0x3e9e377a, v52
	v_add_f32_e32 v12, v12, v40
	v_fmamk_f32 v56, v25, 0xbf737871, v17
	v_fmac_f32_e32 v17, 0x3f737871, v25
	v_fmac_f32_e32 v45, 0x3f167918, v48
	;; [unrolled: 1-line block ×9, first 2 shown]
	v_add_f32_e32 v9, v9, v10
	v_fmac_f32_e32 v46, 0x3e9e377a, v50
	v_mul_f32_e32 v10, 0x3f167918, v43
	v_add_f32_e32 v11, v12, v47
	v_fmac_f32_e32 v56, 0x3f167918, v18
	v_fmac_f32_e32 v17, 0xbf167918, v18
	;; [unrolled: 1-line block ×4, first 2 shown]
	v_mul_f32_e32 v12, 0x3f737871, v44
	v_mul_f32_e32 v13, 0x3e9e377a, v15
	v_fmac_f32_e32 v14, 0xbf167918, v25
	v_fmac_f32_e32 v39, 0x3e9e377a, v52
	v_mul_f32_e32 v18, 0x3f4f1bbd, v37
	v_fmac_f32_e32 v54, 0x3e9e377a, v27
	v_fmac_f32_e32 v10, 0x3f4f1bbd, v46
	v_fmac_f32_e32 v56, 0x3e9e377a, v61
	v_fmac_f32_e32 v17, 0x3e9e377a, v61
	v_fmac_f32_e32 v12, 0x3e9e377a, v45
	v_fma_f32 v13, 0x3f737871, v41, -v13
	v_fmac_f32_e32 v14, 0x3e9e377a, v27
	v_fma_f32 v18, 0x3f167918, v39, -v18
	v_add_f32_e32 v25, v11, v9
	v_add_f32_e32 v48, v54, v10
	;; [unrolled: 1-line block ×4, first 2 shown]
	v_sub_f32_e32 v27, v11, v9
	v_add_f32_e32 v51, v14, v18
	v_sub_f32_e32 v9, v54, v10
	v_sub_f32_e32 v10, v56, v12
	;; [unrolled: 1-line block ×4, first 2 shown]
	ds_write2_b32 v22, v25, v48 offset1:6
	ds_write2_b32 v22, v49, v50 offset0:12 offset1:18
	ds_write2_b32 v22, v51, v27 offset0:24 offset1:30
	;; [unrolled: 1-line block ×4, first 2 shown]
	s_waitcnt lgkmcnt(0)
	s_barrier
	buffer_gl0_inv
	ds_read2_b32 v[17:18], v21 offset0:52 offset1:232
	ds_read2_b32 v[13:14], v20 offset0:28 offset1:208
	ds_read_b32 v25, v28
	ds_read_b32 v27, v26 offset:3600
	s_and_saveexec_b32 s1, s0
	s_cbranch_execz .LBB0_21
; %bb.20:
	v_add_nc_u32_e32 v5, 0x100, v26
	v_add_nc_u32_e32 v6, 0x700, v26
	;; [unrolled: 1-line block ×3, first 2 shown]
	ds_read2_b32 v[9:10], v5 offset0:44 offset1:224
	ds_read2_b32 v[11:12], v6 offset0:20 offset1:200
	;; [unrolled: 1-line block ×3, first 2 shown]
.LBB0_21:
	s_or_b32 exec_lo, exec_lo, s1
	v_add_f32_e32 v48, v34, v35
	v_add_f32_e32 v49, v33, v36
	v_add_f32_e32 v20, v19, v33
	v_sub_f32_e32 v38, v38, v40
	v_sub_f32_e32 v42, v42, v47
	v_fma_f32 v48, -0.5, v48, v19
	v_fmac_f32_e32 v19, -0.5, v49
	v_add_f32_e32 v23, v23, v32
	v_sub_f32_e32 v47, v33, v34
	v_add_f32_e32 v20, v20, v34
	v_sub_f32_e32 v33, v34, v33
	v_fmamk_f32 v49, v38, 0x3f737871, v19
	v_sub_f32_e32 v34, v35, v36
	v_fmac_f32_e32 v19, 0xbf737871, v38
	v_sub_f32_e32 v50, v36, v35
	v_fmamk_f32 v40, v42, 0xbf737871, v48
	v_add_f32_e32 v23, v23, v29
	v_fmac_f32_e32 v49, 0xbf167918, v42
	v_add_f32_e32 v32, v33, v34
	v_fmac_f32_e32 v19, 0x3f167918, v42
	v_fmac_f32_e32 v48, 0x3f737871, v42
	v_add_f32_e32 v20, v20, v35
	v_add_f32_e32 v47, v47, v50
	v_fmac_f32_e32 v40, 0xbf167918, v38
	v_add_f32_e32 v23, v23, v24
	v_mul_f32_e32 v24, 0xbf167918, v46
	v_fmac_f32_e32 v49, 0x3e9e377a, v32
	v_fmac_f32_e32 v19, 0x3e9e377a, v32
	v_mul_f32_e32 v29, 0xbf737871, v45
	v_mul_f32_e32 v32, 0x3e9e377a, v41
	v_fmac_f32_e32 v48, 0x3f167918, v38
	v_mul_f32_e32 v33, 0x3f4f1bbd, v39
	v_add_f32_e32 v20, v20, v36
	v_fmac_f32_e32 v40, 0x3e9e377a, v47
	v_add_f32_e32 v16, v23, v16
	v_fmac_f32_e32 v24, 0x3f4f1bbd, v43
	v_fmac_f32_e32 v29, 0x3e9e377a, v44
	v_fma_f32 v23, 0xbf737871, v15, -v32
	v_fmac_f32_e32 v48, 0x3e9e377a, v47
	v_fma_f32 v32, 0xbf167918, v37, -v33
	v_add_f32_e32 v33, v20, v16
	v_add_f32_e32 v34, v40, v24
	;; [unrolled: 1-line block ×5, first 2 shown]
	v_sub_f32_e32 v38, v20, v16
	v_sub_f32_e32 v15, v40, v24
	;; [unrolled: 1-line block ×5, first 2 shown]
	s_waitcnt lgkmcnt(0)
	s_barrier
	buffer_gl0_inv
	ds_write2_b32 v22, v33, v34 offset1:6
	ds_write2_b32 v22, v35, v36 offset0:12 offset1:18
	ds_write2_b32 v22, v37, v38 offset0:24 offset1:30
	ds_write2_b32 v22, v15, v16 offset0:36 offset1:42
	ds_write2_b32 v22, v19, v20 offset0:48 offset1:54
	v_add_nc_u32_e32 v22, 0x800, v26
	s_waitcnt lgkmcnt(0)
	s_barrier
	buffer_gl0_inv
	ds_read2_b32 v[23:24], v21 offset0:52 offset1:232
	ds_read2_b32 v[21:22], v22 offset0:28 offset1:208
	ds_read_b32 v29, v28
	ds_read_b32 v32, v26 offset:3600
	s_and_saveexec_b32 s1, s0
	s_cbranch_execz .LBB0_23
; %bb.22:
	v_add_nc_u32_e32 v7, 0x100, v26
	v_add_nc_u32_e32 v8, 0x700, v26
	;; [unrolled: 1-line block ×3, first 2 shown]
	ds_read2_b32 v[15:16], v7 offset0:44 offset1:224
	ds_read2_b32 v[19:20], v8 offset0:20 offset1:200
	;; [unrolled: 1-line block ×3, first 2 shown]
.LBB0_23:
	s_or_b32 exec_lo, exec_lo, s1
	v_subrev_nc_u32_e32 v33, 60, v30
	v_cmp_gt_u32_e64 s1, 60, v30
	v_and_b32_e32 v35, 0xff, v0
	v_mov_b32_e32 v34, 0
	v_mov_b32_e32 v38, 5
	v_cndmask_b32_e64 v37, v33, v30, s1
	v_mul_lo_u16 v35, 0x89, v35
	v_mul_i32_i24_e32 v33, 5, v37
	v_lshrrev_b16 v62, 13, v35
	v_lshlrev_b64 v[33:34], 3, v[33:34]
	v_add_co_u32 v35, s1, s8, v33
	v_mul_lo_u16 v33, v62, 60
	v_add_co_ci_u32_e64 v36, s1, s9, v34, s1
	v_cmp_lt_u32_e64 s1, 59, v30
	s_clause 0x1
	global_load_dwordx4 v[42:45], v[35:36], off offset:432
	global_load_dwordx4 v[46:49], v[35:36], off offset:448
	v_sub_nc_u16 v34, v0, v33
	global_load_dwordx2 v[58:59], v[35:36], off offset:464
	v_lshlrev_b32_e32 v35, 2, v37
	v_mul_u32_u24_sdwa v33, v34, v38 dst_sel:DWORD dst_unused:UNUSED_PAD src0_sel:BYTE_0 src1_sel:DWORD
	v_lshlrev_b32_e32 v33, 3, v33
	s_clause 0x2
	global_load_dwordx4 v[50:53], v33, s[8:9] offset:432
	global_load_dwordx4 v[54:57], v33, s[8:9] offset:448
	global_load_dwordx2 v[60:61], v33, s[8:9] offset:464
	v_cndmask_b32_e64 v33, 0, 0x5a0, s1
	s_waitcnt vmcnt(0) lgkmcnt(0)
	s_barrier
	buffer_gl0_inv
	v_add_nc_u32_e32 v33, 0, v33
	v_add3_u32 v35, v33, v35, v31
	v_add_nc_u32_e32 v33, 0x200, v35
	v_mul_f32_e32 v36, v23, v43
	v_mul_f32_e32 v39, v17, v43
	;; [unrolled: 1-line block ×10, first 2 shown]
	v_fma_f32 v36, v17, v42, -v36
	v_fmac_f32_e32 v39, v23, v42
	v_fma_f32 v42, v18, v44, -v43
	v_fmac_f32_e32 v41, v24, v44
	;; [unrolled: 2-line block ×4, first 2 shown]
	v_fmac_f32_e32 v38, v32, v58
	v_mul_f32_e32 v22, v16, v51
	v_mul_f32_e32 v24, v11, v53
	;; [unrolled: 1-line block ×7, first 2 shown]
	v_fma_f32 v14, v27, v58, -v49
	v_mul_f32_e32 v17, v10, v51
	v_mul_f32_e32 v27, v19, v53
	;; [unrolled: 1-line block ×3, first 2 shown]
	v_add_f32_e32 v46, v25, v42
	v_add_f32_e32 v47, v42, v43
	;; [unrolled: 1-line block ×4, first 2 shown]
	v_fma_f32 v22, v10, v50, -v22
	v_fmac_f32_e32 v24, v19, v52
	v_fma_f32 v10, v12, v54, -v32
	v_fmac_f32_e32 v21, v20, v54
	v_fma_f32 v19, v5, v56, -v44
	v_fma_f32 v5, v6, v60, -v45
	v_fmac_f32_e32 v18, v8, v60
	v_sub_f32_e32 v48, v41, v37
	v_add_f32_e32 v51, v13, v14
	v_sub_f32_e32 v13, v13, v14
	v_fmac_f32_e32 v17, v16, v50
	v_fma_f32 v16, v11, v52, -v27
	v_fmac_f32_e32 v23, v7, v56
	v_add_f32_e32 v6, v46, v43
	v_fmac_f32_e32 v25, -0.5, v47
	v_add_f32_e32 v7, v49, v14
	v_fma_f32 v45, -0.5, v55, v39
	v_add_f32_e32 v20, v10, v5
	v_add_f32_e32 v32, v21, v18
	v_sub_f32_e32 v53, v40, v38
	v_fmac_f32_e32 v36, -0.5, v51
	v_add_f32_e32 v11, v16, v19
	v_add_f32_e32 v14, v22, v10
	v_sub_f32_e32 v27, v21, v18
	v_sub_f32_e32 v49, v10, v5
	v_fmamk_f32 v50, v48, 0x3f5db3d7, v25
	v_fmac_f32_e32 v25, 0xbf5db3d7, v48
	v_fmamk_f32 v46, v13, 0xbf5db3d7, v45
	v_fmac_f32_e32 v45, 0x3f5db3d7, v13
	v_add_f32_e32 v13, v6, v7
	v_sub_f32_e32 v48, v6, v7
	v_fmac_f32_e32 v22, -0.5, v20
	v_fma_f32 v6, -0.5, v32, v17
	v_add_f32_e32 v8, v9, v16
	v_sub_f32_e32 v12, v24, v23
	v_fmamk_f32 v47, v53, 0x3f5db3d7, v36
	v_fmac_f32_e32 v36, 0xbf5db3d7, v53
	v_fmac_f32_e32 v9, -0.5, v11
	v_fmamk_f32 v44, v27, 0x3f5db3d7, v22
	v_fmamk_f32 v32, v49, 0xbf5db3d7, v6
	v_fmac_f32_e32 v22, 0xbf5db3d7, v27
	v_add_f32_e32 v7, v8, v19
	v_add_f32_e32 v8, v14, v5
	v_mul_f32_e32 v14, 0x3f5db3d7, v46
	v_mul_f32_e32 v20, -0.5, v36
	v_fmamk_f32 v10, v12, 0x3f5db3d7, v9
	v_fmac_f32_e32 v9, 0xbf5db3d7, v12
	v_fmac_f32_e32 v6, 0x3f5db3d7, v49
	v_mul_f32_e32 v12, 0x3f5db3d7, v32
	v_mul_f32_e32 v11, -0.5, v22
	v_fmac_f32_e32 v14, 0.5, v47
	v_fmac_f32_e32 v20, 0x3f5db3d7, v45
	v_sub_f32_e32 v5, v7, v8
	v_fmac_f32_e32 v12, 0.5, v44
	v_fmac_f32_e32 v11, 0x3f5db3d7, v6
	v_add_f32_e32 v49, v50, v14
	v_add_f32_e32 v51, v25, v20
	v_sub_f32_e32 v14, v50, v14
	v_sub_f32_e32 v50, v25, v20
	;; [unrolled: 1-line block ×4, first 2 shown]
	v_and_b32_e32 v20, 0xffff, v62
	ds_write2_b32 v35, v13, v49 offset1:60
	ds_write2_b32 v35, v51, v48 offset0:120 offset1:180
	ds_write2_b32 v33, v14, v50 offset0:112 offset1:172
	s_and_saveexec_b32 s1, s0
	s_cbranch_execz .LBB0_25
; %bb.24:
	v_mov_b32_e32 v13, 2
	v_mad_u32_u24 v14, 0x5a0, v20, 0
	v_add_f32_e32 v10, v10, v12
	v_add_f32_e32 v7, v7, v8
	v_add_f32_e32 v8, v9, v11
	v_lshlrev_b32_sdwa v13, v13, v34 dst_sel:DWORD dst_unused:UNUSED_PAD src0_sel:DWORD src1_sel:BYTE_0
	v_add3_u32 v13, v14, v13, v31
	v_add_nc_u32_e32 v9, 0x200, v13
	ds_write2_b32 v13, v7, v10 offset1:60
	ds_write2_b32 v13, v8, v5 offset0:120 offset1:180
	ds_write2_b32 v9, v27, v25 offset0:112 offset1:172
.LBB0_25:
	s_or_b32 exec_lo, exec_lo, s1
	v_add_nc_u32_e32 v7, 0x400, v26
	v_add_nc_u32_e32 v8, 0x800, v26
	;; [unrolled: 1-line block ×3, first 2 shown]
	s_waitcnt lgkmcnt(0)
	s_barrier
	buffer_gl0_inv
	ds_read_b32 v33, v28
	ds_read2_b32 v[9:10], v7 offset0:104 offset1:212
	ds_read2_b32 v[13:14], v8 offset0:64 offset1:208
	;; [unrolled: 1-line block ×4, first 2 shown]
	v_cmp_gt_u32_e64 s1, 36, v30
	s_and_saveexec_b32 s6, s1
	s_cbranch_execz .LBB0_27
; %bb.26:
	ds_read_b32 v5, v26 offset:1296
	ds_read_b32 v27, v26 offset:2736
	;; [unrolled: 1-line block ×3, first 2 shown]
.LBB0_27:
	s_or_b32 exec_lo, exec_lo, s6
	v_sub_f32_e32 v42, v42, v43
	v_mul_f32_e32 v43, -0.5, v45
	v_add_f32_e32 v48, v41, v37
	v_add_f32_e32 v41, v29, v41
	;; [unrolled: 1-line block ×3, first 2 shown]
	v_mul_f32_e32 v40, 0xbf5db3d7, v47
	v_fmac_f32_e32 v43, 0xbf5db3d7, v36
	v_add_f32_e32 v36, v24, v23
	v_add_f32_e32 v24, v15, v24
	v_fmac_f32_e32 v29, -0.5, v48
	v_add_f32_e32 v37, v41, v37
	v_add_f32_e32 v38, v39, v38
	v_fmac_f32_e32 v15, -0.5, v36
	v_sub_f32_e32 v36, v16, v19
	v_add_f32_e32 v16, v24, v23
	v_add_f32_e32 v23, v17, v21
	v_mul_f32_e32 v17, 0xbf5db3d7, v44
	v_mul_f32_e32 v19, -0.5, v6
	v_fmac_f32_e32 v40, 0.5, v46
	v_fmamk_f32 v39, v42, 0xbf5db3d7, v29
	v_fmac_f32_e32 v29, 0x3f5db3d7, v42
	v_fmamk_f32 v21, v36, 0xbf5db3d7, v15
	v_fmac_f32_e32 v15, 0x3f5db3d7, v36
	v_add_f32_e32 v18, v23, v18
	v_fmac_f32_e32 v17, 0.5, v32
	v_fmac_f32_e32 v19, 0xbf5db3d7, v22
	v_add_f32_e32 v41, v37, v38
	v_add_f32_e32 v42, v39, v40
	v_add_f32_e32 v45, v29, v43
	v_sub_f32_e32 v23, v29, v43
	v_sub_f32_e32 v6, v16, v18
	;; [unrolled: 1-line block ×6, first 2 shown]
	v_add_nc_u32_e32 v24, 0x200, v35
	s_waitcnt lgkmcnt(0)
	s_barrier
	buffer_gl0_inv
	ds_write2_b32 v35, v41, v42 offset1:60
	ds_write2_b32 v35, v45, v37 offset0:120 offset1:180
	ds_write2_b32 v24, v22, v23 offset0:112 offset1:172
	s_and_saveexec_b32 s6, s0
	s_cbranch_execz .LBB0_29
; %bb.28:
	v_mov_b32_e32 v22, 2
	v_mad_u32_u24 v20, 0x5a0, v20, 0
	v_add_f32_e32 v16, v16, v18
	v_add_f32_e32 v17, v21, v17
	;; [unrolled: 1-line block ×3, first 2 shown]
	v_lshlrev_b32_sdwa v22, v22, v34 dst_sel:DWORD dst_unused:UNUSED_PAD src0_sel:DWORD src1_sel:BYTE_0
	v_add3_u32 v20, v20, v22, v31
	v_add_nc_u32_e32 v18, 0x200, v20
	ds_write2_b32 v20, v16, v17 offset1:60
	ds_write2_b32 v20, v15, v6 offset0:120 offset1:180
	ds_write2_b32 v18, v32, v29 offset0:112 offset1:172
.LBB0_29:
	s_or_b32 exec_lo, exec_lo, s6
	v_add_nc_u32_e32 v15, 0x400, v26
	v_add_nc_u32_e32 v16, 0x800, v26
	;; [unrolled: 1-line block ×3, first 2 shown]
	s_waitcnt lgkmcnt(0)
	s_barrier
	buffer_gl0_inv
	ds_read_b32 v28, v28
	ds_read2_b32 v[19:20], v15 offset0:104 offset1:212
	ds_read2_b32 v[23:24], v16 offset0:64 offset1:208
	;; [unrolled: 1-line block ×4, first 2 shown]
	s_and_saveexec_b32 s0, s1
	s_cbranch_execz .LBB0_31
; %bb.30:
	ds_read_b32 v6, v26 offset:1296
	ds_read_b32 v32, v26 offset:2736
	;; [unrolled: 1-line block ×3, first 2 shown]
.LBB0_31:
	s_or_b32 exec_lo, exec_lo, s0
	s_and_saveexec_b32 s0, vcc_lo
	s_cbranch_execz .LBB0_34
; %bb.32:
	v_lshlrev_b32_e32 v34, 1, v30
	v_mov_b32_e32 v18, 0
	v_add_nc_u32_e32 v46, 0xd8, v30
	v_add_nc_u32_e32 v17, 0x1b0, v34
	v_mov_b32_e32 v35, v18
	v_lshrrev_b32_e32 v48, 3, v46
	v_lshlrev_b64 v[36:37], 3, v[17:18]
	v_lshlrev_b32_e32 v17, 1, v0
	v_lshlrev_b64 v[34:35], 3, v[34:35]
	v_lshlrev_b64 v[38:39], 3, v[17:18]
	v_add_co_u32 v0, vcc_lo, s8, v36
	v_add_co_ci_u32_e32 v17, vcc_lo, s9, v37, vcc_lo
	v_add_co_u32 v26, vcc_lo, s8, v34
	v_add_co_ci_u32_e32 v31, vcc_lo, s9, v35, vcc_lo
	;; [unrolled: 2-line block ×5, first 2 shown]
	s_clause 0x1
	global_load_dwordx4 v[34:37], v[34:35], off offset:784
	global_load_dwordx4 v[38:41], v[40:41], off offset:784
	v_add_co_u32 v42, vcc_lo, 0x800, v0
	v_add_co_ci_u32_e32 v43, vcc_lo, 0, v17, vcc_lo
	v_lshrrev_b32_e32 v26, 3, v30
	v_add_nc_u32_e32 v31, 0x6c, v30
	v_mul_lo_u32 v0, s5, v3
	global_load_dwordx4 v[42:45], v[42:43], off offset:784
	v_mul_lo_u32 v17, s4, v4
	v_mad_u64_u32 v[3:4], null, s4, v3, 0
	v_mul_hi_u32 v26, 0x16c16c17, v26
	v_lshrrev_b32_e32 v47, 3, v31
	v_add3_u32 v4, v4, v17, v0
	v_mul_hi_u32 v17, 0x16c16c17, v47
	v_lshrrev_b32_e32 v26, 2, v26
	v_mul_hi_u32 v47, 0x16c16c17, v48
	v_lshlrev_b64 v[0:1], 3, v[1:2]
	v_lshlrev_b64 v[3:4], 3, v[3:4]
	v_mul_u32_u24_e32 v2, 0x168, v26
	v_lshrrev_b32_e32 v17, 2, v17
	v_add_co_u32 v3, vcc_lo, s14, v3
	v_lshrrev_b32_e32 v26, 2, v47
	v_add_co_ci_u32_e32 v4, vcc_lo, s15, v4, vcc_lo
	v_sub_nc_u32_e32 v52, v30, v2
	v_mul_u32_u24_e32 v47, 0x168, v17
	v_add_co_u32 v0, vcc_lo, v3, v0
	v_mul_u32_u24_e32 v48, 0x168, v26
	v_add_co_ci_u32_e32 v1, vcc_lo, v4, v1, vcc_lo
	v_add_nc_u32_e32 v54, 0x168, v52
	v_sub_nc_u32_e32 v4, v31, v47
	v_add_nc_u32_e32 v31, 0x2d0, v52
	v_mad_u64_u32 v[2:3], null, s2, v52, 0
	v_sub_nc_u32_e32 v50, v46, v48
	v_mad_u64_u32 v[46:47], null, s2, v54, 0
	v_mad_u32_u24 v60, 0x438, v17, v4
	v_mad_u64_u32 v[48:49], null, s2, v31, 0
	v_mad_u32_u24 v26, 0x438, v26, v50
	v_mad_u64_u32 v[3:4], null, s3, v52, v[3:4]
	v_add_nc_u32_e32 v61, 0x168, v60
	v_mov_b32_e32 v4, v47
	v_mad_u64_u32 v[50:51], null, s2, v60, 0
	v_add_nc_u32_e32 v62, 0x2d0, v60
	v_mov_b32_e32 v17, v49
	v_add_nc_u32_e32 v63, 0x168, v26
	v_mad_u64_u32 v[52:53], null, s2, v61, 0
	v_mad_u64_u32 v[54:55], null, s3, v54, v[4:5]
	;; [unrolled: 1-line block ×5, first 2 shown]
	v_mov_b32_e32 v4, v51
	v_mov_b32_e32 v17, v53
	;; [unrolled: 1-line block ×3, first 2 shown]
	v_lshlrev_b64 v[2:3], 3, v[2:3]
	v_mov_b32_e32 v49, v57
	v_mad_u64_u32 v[53:54], null, s3, v60, v[4:5]
	v_mov_b32_e32 v4, v56
	v_mad_u64_u32 v[56:57], null, s3, v61, v[17:18]
	v_mov_b32_e32 v17, v59
	v_lshlrev_b64 v[46:47], 3, v[46:47]
	v_mad_u64_u32 v[59:60], null, s3, v62, v[4:5]
	v_mov_b32_e32 v51, v53
	v_mad_u64_u32 v[60:61], null, s3, v63, v[17:18]
	v_mad_u64_u32 v[61:62], null, s2, v26, 0
	v_add_nc_u32_e32 v17, 0x2d0, v26
	v_add_co_u32 v63, vcc_lo, v0, v2
	v_add_co_ci_u32_e32 v64, vcc_lo, v1, v3, vcc_lo
	v_lshlrev_b64 v[48:49], 3, v[48:49]
	v_mov_b32_e32 v4, v62
	v_lshlrev_b64 v[50:51], 3, v[50:51]
	v_add_co_u32 v46, s0, v0, v46
	v_add_co_ci_u32_e64 v47, s0, v1, v47, s0
	v_mad_u64_u32 v[53:54], null, s3, v26, v[4:5]
	v_mad_u64_u32 v[3:4], null, s2, v17, 0
	v_add_co_u32 v48, s0, v0, v48
	v_add_co_ci_u32_e64 v49, s0, v1, v49, s0
	v_mov_b32_e32 v62, v53
	v_mov_b32_e32 v53, v56
	;; [unrolled: 1-line block ×5, first 2 shown]
	v_lshlrev_b64 v[61:62], 3, v[61:62]
	v_lshlrev_b64 v[52:53], 3, v[52:53]
	v_mad_u64_u32 v[65:66], null, s3, v17, v[2:3]
	v_add_co_u32 v50, s0, v0, v50
	v_add_co_ci_u32_e64 v51, s0, v1, v51, s0
	v_lshlrev_b64 v[54:55], 3, v[55:56]
	v_lshlrev_b64 v[56:57], 3, v[58:59]
	v_add_co_u32 v58, s0, v0, v61
	v_mov_b32_e32 v4, v65
	v_add_co_ci_u32_e64 v59, s0, v1, v62, s0
	v_add_co_u32 v52, s0, v0, v52
	v_add_nc_u32_e32 v2, 0x144, v30
	v_add_co_ci_u32_e64 v53, s0, v1, v53, s0
	v_lshlrev_b64 v[3:4], 3, v[3:4]
	v_add_co_u32 v54, s0, v0, v54
	v_add_co_ci_u32_e64 v55, s0, v1, v55, s0
	v_cmp_gt_u32_e32 vcc_lo, 0x168, v2
	v_add_co_u32 v56, s0, v0, v56
	v_add_co_ci_u32_e64 v57, s0, v1, v57, s0
	v_add_co_u32 v3, s0, v0, v3
	v_add_co_ci_u32_e64 v4, s0, v1, v4, s0
	s_waitcnt vmcnt(2) lgkmcnt(2)
	v_mul_f32_e32 v17, v23, v35
	v_mul_f32_e32 v31, v13, v35
	;; [unrolled: 1-line block ×3, first 2 shown]
	s_waitcnt lgkmcnt(0)
	v_mul_f32_e32 v26, v22, v37
	s_waitcnt vmcnt(1)
	v_mul_f32_e32 v37, v19, v39
	v_mul_f32_e32 v60, v24, v41
	v_fma_f32 v13, v13, v34, -v17
	v_fmac_f32_e32 v35, v22, v36
	v_mul_f32_e32 v17, v9, v39
	v_mul_f32_e32 v22, v14, v41
	v_fma_f32 v12, v12, v36, -v26
	v_fmac_f32_e32 v31, v23, v34
	s_waitcnt vmcnt(0)
	v_mul_f32_e32 v23, v20, v43
	v_mul_f32_e32 v26, v21, v45
	;; [unrolled: 1-line block ×4, first 2 shown]
	v_fma_f32 v14, v14, v40, -v60
	v_fma_f32 v9, v9, v38, -v37
	v_fmac_f32_e32 v17, v19, v38
	v_fmac_f32_e32 v22, v24, v40
	v_add_f32_e32 v24, v31, v35
	v_add_f32_e32 v38, v13, v12
	v_fma_f32 v23, v10, v42, -v23
	v_fma_f32 v26, v11, v44, -v26
	v_fmac_f32_e32 v34, v20, v42
	v_fmac_f32_e32 v36, v21, v44
	v_sub_f32_e32 v19, v13, v12
	v_add_f32_e32 v37, v16, v31
	v_add_f32_e32 v13, v8, v13
	;; [unrolled: 1-line block ×4, first 2 shown]
	v_sub_f32_e32 v39, v9, v14
	v_add_f32_e32 v42, v33, v9
	v_fma_f32 v9, -0.5, v24, v16
	v_fma_f32 v8, -0.5, v38, v8
	v_add_f32_e32 v24, v34, v36
	v_add_f32_e32 v38, v23, v26
	;; [unrolled: 1-line block ×3, first 2 shown]
	v_sub_f32_e32 v31, v31, v35
	v_sub_f32_e32 v41, v17, v22
	v_add_f32_e32 v11, v37, v35
	v_add_f32_e32 v10, v13, v12
	v_sub_f32_e32 v35, v23, v26
	v_add_f32_e32 v23, v7, v23
	v_fma_f32 v13, -0.5, v20, v28
	v_fma_f32 v12, -0.5, v40, v33
	v_add_f32_e32 v37, v15, v34
	v_sub_f32_e32 v43, v34, v36
	v_add_f32_e32 v16, v42, v14
	v_fma_f32 v15, -0.5, v24, v15
	v_fma_f32 v14, -0.5, v38, v7
	v_add_f32_e32 v17, v21, v22
	v_add_f32_e32 v21, v23, v26
	v_fmamk_f32 v24, v39, 0x3f5db3d7, v13
	v_fmac_f32_e32 v13, 0xbf5db3d7, v39
	v_fmamk_f32 v23, v41, 0xbf5db3d7, v12
	v_fmac_f32_e32 v12, 0x3f5db3d7, v41
	v_add_f32_e32 v22, v37, v36
	v_fmamk_f32 v34, v35, 0x3f5db3d7, v15
	v_fmac_f32_e32 v15, 0xbf5db3d7, v35
	v_fmamk_f32 v33, v43, 0xbf5db3d7, v14
	v_fmac_f32_e32 v14, 0x3f5db3d7, v43
	;; [unrolled: 2-line block ×4, first 2 shown]
	global_store_dwordx2 v[63:64], v[16:17], off
	global_store_dwordx2 v[46:47], v[12:13], off
	;; [unrolled: 1-line block ×9, first 2 shown]
	s_and_b32 exec_lo, exec_lo, vcc_lo
	s_cbranch_execz .LBB0_34
; %bb.33:
	v_mov_b32_e32 v3, 0x144
	v_cndmask_b32_e64 v3, 0xffffffdc, v3, s1
	v_add_lshl_u32 v17, v30, v3, 1
	v_lshlrev_b64 v[3:4], 3, v[17:18]
	v_add_nc_u32_e32 v17, 0x2ac, v30
	v_add_nc_u32_e32 v18, 0x414, v30
	v_mad_u64_u32 v[11:12], null, s2, v17, 0
	v_add_co_u32 v3, vcc_lo, s8, v3
	v_add_co_ci_u32_e32 v4, vcc_lo, s9, v4, vcc_lo
	v_mad_u64_u32 v[13:14], null, s2, v18, 0
	v_add_co_u32 v3, vcc_lo, 0x800, v3
	v_add_co_ci_u32_e32 v4, vcc_lo, 0, v4, vcc_lo
	global_load_dwordx4 v[7:10], v[3:4], off offset:784
	v_mad_u64_u32 v[3:4], null, s2, v2, 0
	v_mad_u64_u32 v[15:16], null, s3, v2, v[4:5]
	;; [unrolled: 1-line block ×4, first 2 shown]
	v_mov_b32_e32 v4, v15
	v_mov_b32_e32 v12, v16
	v_lshlrev_b64 v[2:3], 3, v[3:4]
	v_mov_b32_e32 v14, v17
	v_lshlrev_b64 v[11:12], 3, v[11:12]
	v_lshlrev_b64 v[13:14], 3, v[13:14]
	v_add_co_u32 v2, vcc_lo, v0, v2
	v_add_co_ci_u32_e32 v3, vcc_lo, v1, v3, vcc_lo
	s_waitcnt vmcnt(0)
	v_mul_f32_e32 v4, v32, v8
	v_mul_f32_e32 v8, v27, v8
	;; [unrolled: 1-line block ×4, first 2 shown]
	v_add_co_u32 v10, vcc_lo, v0, v11
	v_fma_f32 v4, v27, v7, -v4
	v_fmac_f32_e32 v8, v32, v7
	v_fma_f32 v7, v25, v9, -v15
	v_fmac_f32_e32 v16, v29, v9
	v_add_co_ci_u32_e32 v11, vcc_lo, v1, v12, vcc_lo
	v_add_co_u32 v0, vcc_lo, v0, v13
	v_add_f32_e32 v9, v4, v7
	v_add_f32_e32 v13, v8, v16
	v_add_co_ci_u32_e32 v1, vcc_lo, v1, v14, vcc_lo
	v_add_f32_e32 v12, v5, v4
	v_sub_f32_e32 v14, v8, v16
	v_add_f32_e32 v8, v6, v8
	v_fmac_f32_e32 v5, -0.5, v9
	v_sub_f32_e32 v4, v4, v7
	v_fmac_f32_e32 v6, -0.5, v13
	v_add_f32_e32 v7, v12, v7
	v_add_f32_e32 v8, v8, v16
	v_fmamk_f32 v12, v14, 0x3f5db3d7, v5
	v_fmac_f32_e32 v5, 0xbf5db3d7, v14
	v_fmamk_f32 v13, v4, 0xbf5db3d7, v6
	v_fmac_f32_e32 v6, 0x3f5db3d7, v4
	global_store_dwordx2 v[2:3], v[7:8], off
	global_store_dwordx2 v[10:11], v[12:13], off
	;; [unrolled: 1-line block ×3, first 2 shown]
.LBB0_34:
	s_endpgm
	.section	.rodata,"a",@progbits
	.p2align	6, 0x0
	.amdhsa_kernel fft_rtc_fwd_len1080_factors_6_10_6_3_wgs_216_tpt_108_halfLds_sp_op_CI_CI_sbrr_dirReg
		.amdhsa_group_segment_fixed_size 0
		.amdhsa_private_segment_fixed_size 0
		.amdhsa_kernarg_size 104
		.amdhsa_user_sgpr_count 6
		.amdhsa_user_sgpr_private_segment_buffer 1
		.amdhsa_user_sgpr_dispatch_ptr 0
		.amdhsa_user_sgpr_queue_ptr 0
		.amdhsa_user_sgpr_kernarg_segment_ptr 1
		.amdhsa_user_sgpr_dispatch_id 0
		.amdhsa_user_sgpr_flat_scratch_init 0
		.amdhsa_user_sgpr_private_segment_size 0
		.amdhsa_wavefront_size32 1
		.amdhsa_uses_dynamic_stack 0
		.amdhsa_system_sgpr_private_segment_wavefront_offset 0
		.amdhsa_system_sgpr_workgroup_id_x 1
		.amdhsa_system_sgpr_workgroup_id_y 0
		.amdhsa_system_sgpr_workgroup_id_z 0
		.amdhsa_system_sgpr_workgroup_info 0
		.amdhsa_system_vgpr_workitem_id 0
		.amdhsa_next_free_vgpr 67
		.amdhsa_next_free_sgpr 31
		.amdhsa_reserve_vcc 1
		.amdhsa_reserve_flat_scratch 0
		.amdhsa_float_round_mode_32 0
		.amdhsa_float_round_mode_16_64 0
		.amdhsa_float_denorm_mode_32 3
		.amdhsa_float_denorm_mode_16_64 3
		.amdhsa_dx10_clamp 1
		.amdhsa_ieee_mode 1
		.amdhsa_fp16_overflow 0
		.amdhsa_workgroup_processor_mode 1
		.amdhsa_memory_ordered 1
		.amdhsa_forward_progress 0
		.amdhsa_shared_vgpr_count 0
		.amdhsa_exception_fp_ieee_invalid_op 0
		.amdhsa_exception_fp_denorm_src 0
		.amdhsa_exception_fp_ieee_div_zero 0
		.amdhsa_exception_fp_ieee_overflow 0
		.amdhsa_exception_fp_ieee_underflow 0
		.amdhsa_exception_fp_ieee_inexact 0
		.amdhsa_exception_int_div_zero 0
	.end_amdhsa_kernel
	.text
.Lfunc_end0:
	.size	fft_rtc_fwd_len1080_factors_6_10_6_3_wgs_216_tpt_108_halfLds_sp_op_CI_CI_sbrr_dirReg, .Lfunc_end0-fft_rtc_fwd_len1080_factors_6_10_6_3_wgs_216_tpt_108_halfLds_sp_op_CI_CI_sbrr_dirReg
                                        ; -- End function
	.section	.AMDGPU.csdata,"",@progbits
; Kernel info:
; codeLenInByte = 7592
; NumSgprs: 33
; NumVgprs: 67
; ScratchSize: 0
; MemoryBound: 0
; FloatMode: 240
; IeeeMode: 1
; LDSByteSize: 0 bytes/workgroup (compile time only)
; SGPRBlocks: 4
; VGPRBlocks: 8
; NumSGPRsForWavesPerEU: 33
; NumVGPRsForWavesPerEU: 67
; Occupancy: 12
; WaveLimiterHint : 1
; COMPUTE_PGM_RSRC2:SCRATCH_EN: 0
; COMPUTE_PGM_RSRC2:USER_SGPR: 6
; COMPUTE_PGM_RSRC2:TRAP_HANDLER: 0
; COMPUTE_PGM_RSRC2:TGID_X_EN: 1
; COMPUTE_PGM_RSRC2:TGID_Y_EN: 0
; COMPUTE_PGM_RSRC2:TGID_Z_EN: 0
; COMPUTE_PGM_RSRC2:TIDIG_COMP_CNT: 0
	.text
	.p2alignl 6, 3214868480
	.fill 48, 4, 3214868480
	.type	__hip_cuid_ca9eff59913d8942,@object ; @__hip_cuid_ca9eff59913d8942
	.section	.bss,"aw",@nobits
	.globl	__hip_cuid_ca9eff59913d8942
__hip_cuid_ca9eff59913d8942:
	.byte	0                               ; 0x0
	.size	__hip_cuid_ca9eff59913d8942, 1

	.ident	"AMD clang version 19.0.0git (https://github.com/RadeonOpenCompute/llvm-project roc-6.4.0 25133 c7fe45cf4b819c5991fe208aaa96edf142730f1d)"
	.section	".note.GNU-stack","",@progbits
	.addrsig
	.addrsig_sym __hip_cuid_ca9eff59913d8942
	.amdgpu_metadata
---
amdhsa.kernels:
  - .args:
      - .actual_access:  read_only
        .address_space:  global
        .offset:         0
        .size:           8
        .value_kind:     global_buffer
      - .offset:         8
        .size:           8
        .value_kind:     by_value
      - .actual_access:  read_only
        .address_space:  global
        .offset:         16
        .size:           8
        .value_kind:     global_buffer
      - .actual_access:  read_only
        .address_space:  global
        .offset:         24
        .size:           8
        .value_kind:     global_buffer
      - .actual_access:  read_only
        .address_space:  global
        .offset:         32
        .size:           8
        .value_kind:     global_buffer
      - .offset:         40
        .size:           8
        .value_kind:     by_value
      - .actual_access:  read_only
        .address_space:  global
        .offset:         48
        .size:           8
        .value_kind:     global_buffer
      - .actual_access:  read_only
        .address_space:  global
        .offset:         56
        .size:           8
        .value_kind:     global_buffer
      - .offset:         64
        .size:           4
        .value_kind:     by_value
      - .actual_access:  read_only
        .address_space:  global
        .offset:         72
        .size:           8
        .value_kind:     global_buffer
      - .actual_access:  read_only
        .address_space:  global
        .offset:         80
        .size:           8
        .value_kind:     global_buffer
      - .actual_access:  read_only
        .address_space:  global
        .offset:         88
        .size:           8
        .value_kind:     global_buffer
      - .actual_access:  write_only
        .address_space:  global
        .offset:         96
        .size:           8
        .value_kind:     global_buffer
    .group_segment_fixed_size: 0
    .kernarg_segment_align: 8
    .kernarg_segment_size: 104
    .language:       OpenCL C
    .language_version:
      - 2
      - 0
    .max_flat_workgroup_size: 216
    .name:           fft_rtc_fwd_len1080_factors_6_10_6_3_wgs_216_tpt_108_halfLds_sp_op_CI_CI_sbrr_dirReg
    .private_segment_fixed_size: 0
    .sgpr_count:     33
    .sgpr_spill_count: 0
    .symbol:         fft_rtc_fwd_len1080_factors_6_10_6_3_wgs_216_tpt_108_halfLds_sp_op_CI_CI_sbrr_dirReg.kd
    .uniform_work_group_size: 1
    .uses_dynamic_stack: false
    .vgpr_count:     67
    .vgpr_spill_count: 0
    .wavefront_size: 32
    .workgroup_processor_mode: 1
amdhsa.target:   amdgcn-amd-amdhsa--gfx1030
amdhsa.version:
  - 1
  - 2
...

	.end_amdgpu_metadata
